;; amdgpu-corpus repo=ROCm/rocFFT kind=compiled arch=gfx950 opt=O3
	.text
	.amdgcn_target "amdgcn-amd-amdhsa--gfx950"
	.amdhsa_code_object_version 6
	.protected	fft_rtc_back_len700_factors_10_7_10_wgs_100_tpt_100_sp_op_CI_CI_sbrr_dirReg ; -- Begin function fft_rtc_back_len700_factors_10_7_10_wgs_100_tpt_100_sp_op_CI_CI_sbrr_dirReg
	.globl	fft_rtc_back_len700_factors_10_7_10_wgs_100_tpt_100_sp_op_CI_CI_sbrr_dirReg
	.p2align	8
	.type	fft_rtc_back_len700_factors_10_7_10_wgs_100_tpt_100_sp_op_CI_CI_sbrr_dirReg,@function
fft_rtc_back_len700_factors_10_7_10_wgs_100_tpt_100_sp_op_CI_CI_sbrr_dirReg: ; @fft_rtc_back_len700_factors_10_7_10_wgs_100_tpt_100_sp_op_CI_CI_sbrr_dirReg
; %bb.0:
	s_load_dwordx4 s[12:15], s[0:1], 0x18
	s_load_dwordx4 s[8:11], s[0:1], 0x0
	;; [unrolled: 1-line block ×3, first 2 shown]
	v_mul_u32_u24_e32 v1, 0x290, v0
	v_add_u32_sdwa v6, s2, v1 dst_sel:DWORD dst_unused:UNUSED_PAD src0_sel:DWORD src1_sel:WORD_1
	s_waitcnt lgkmcnt(0)
	s_load_dwordx2 s[18:19], s[12:13], 0x0
	s_load_dwordx2 s[16:17], s[14:15], 0x0
	v_mov_b32_e32 v4, 0
	v_cmp_lt_u64_e64 s[2:3], s[10:11], 2
	v_mov_b32_e32 v7, v4
	s_and_b64 vcc, exec, s[2:3]
	v_mov_b64_e32 v[2:3], 0
	s_cbranch_vccnz .LBB0_8
; %bb.1:
	s_load_dwordx2 s[2:3], s[0:1], 0x10
	s_add_u32 s20, s14, 8
	s_addc_u32 s21, s15, 0
	s_add_u32 s22, s12, 8
	s_addc_u32 s23, s13, 0
	s_waitcnt lgkmcnt(0)
	s_add_u32 s24, s2, 8
	v_mov_b64_e32 v[2:3], 0
	s_addc_u32 s25, s3, 0
	s_mov_b64 s[26:27], 1
	v_mov_b64_e32 v[28:29], v[2:3]
.LBB0_2:                                ; =>This Inner Loop Header: Depth=1
	s_load_dwordx2 s[28:29], s[24:25], 0x0
                                        ; implicit-def: $vgpr30_vgpr31
	s_waitcnt lgkmcnt(0)
	v_or_b32_e32 v5, s29, v7
	v_cmp_ne_u64_e32 vcc, 0, v[4:5]
	s_and_saveexec_b64 s[2:3], vcc
	s_xor_b64 s[30:31], exec, s[2:3]
	s_cbranch_execz .LBB0_4
; %bb.3:                                ;   in Loop: Header=BB0_2 Depth=1
	v_cvt_f32_u32_e32 v1, s28
	v_cvt_f32_u32_e32 v5, s29
	s_sub_u32 s2, 0, s28
	s_subb_u32 s3, 0, s29
	v_fmac_f32_e32 v1, 0x4f800000, v5
	v_rcp_f32_e32 v1, v1
	s_nop 0
	v_mul_f32_e32 v1, 0x5f7ffffc, v1
	v_mul_f32_e32 v5, 0x2f800000, v1
	v_trunc_f32_e32 v5, v5
	v_fmac_f32_e32 v1, 0xcf800000, v5
	v_cvt_u32_f32_e32 v5, v5
	v_cvt_u32_f32_e32 v1, v1
	v_mul_lo_u32 v8, s2, v5
	v_mul_hi_u32 v10, s2, v1
	v_mul_lo_u32 v9, s3, v1
	v_add_u32_e32 v10, v10, v8
	v_mul_lo_u32 v12, s2, v1
	v_add_u32_e32 v13, v10, v9
	v_mul_hi_u32 v8, v1, v12
	v_mul_hi_u32 v11, v1, v13
	v_mul_lo_u32 v10, v1, v13
	v_mov_b32_e32 v9, v4
	v_lshl_add_u64 v[8:9], v[8:9], 0, v[10:11]
	v_mul_hi_u32 v11, v5, v12
	v_mul_lo_u32 v12, v5, v12
	v_add_co_u32_e32 v8, vcc, v8, v12
	v_mul_hi_u32 v10, v5, v13
	s_nop 0
	v_addc_co_u32_e32 v8, vcc, v9, v11, vcc
	v_mov_b32_e32 v9, v4
	s_nop 0
	v_addc_co_u32_e32 v11, vcc, 0, v10, vcc
	v_mul_lo_u32 v10, v5, v13
	v_lshl_add_u64 v[8:9], v[8:9], 0, v[10:11]
	v_add_co_u32_e32 v1, vcc, v1, v8
	v_mul_lo_u32 v10, s2, v1
	s_nop 0
	v_addc_co_u32_e32 v5, vcc, v5, v9, vcc
	v_mul_lo_u32 v8, s2, v5
	v_mul_hi_u32 v9, s2, v1
	v_add_u32_e32 v8, v9, v8
	v_mul_lo_u32 v9, s3, v1
	v_add_u32_e32 v12, v8, v9
	v_mul_hi_u32 v14, v5, v10
	v_mul_lo_u32 v15, v5, v10
	v_mul_hi_u32 v9, v1, v12
	v_mul_lo_u32 v8, v1, v12
	v_mul_hi_u32 v10, v1, v10
	v_mov_b32_e32 v11, v4
	v_lshl_add_u64 v[8:9], v[10:11], 0, v[8:9]
	v_add_co_u32_e32 v8, vcc, v8, v15
	v_mul_hi_u32 v13, v5, v12
	s_nop 0
	v_addc_co_u32_e32 v8, vcc, v9, v14, vcc
	v_mul_lo_u32 v10, v5, v12
	s_nop 0
	v_addc_co_u32_e32 v11, vcc, 0, v13, vcc
	v_mov_b32_e32 v9, v4
	v_lshl_add_u64 v[8:9], v[8:9], 0, v[10:11]
	v_add_co_u32_e32 v1, vcc, v1, v8
	v_mul_hi_u32 v10, v6, v1
	s_nop 0
	v_addc_co_u32_e32 v5, vcc, v5, v9, vcc
	v_mad_u64_u32 v[8:9], s[2:3], v6, v5, 0
	v_mov_b32_e32 v11, v4
	v_lshl_add_u64 v[8:9], v[10:11], 0, v[8:9]
	v_mad_u64_u32 v[12:13], s[2:3], v7, v1, 0
	v_add_co_u32_e32 v1, vcc, v8, v12
	v_mad_u64_u32 v[10:11], s[2:3], v7, v5, 0
	s_nop 0
	v_addc_co_u32_e32 v8, vcc, v9, v13, vcc
	v_mov_b32_e32 v9, v4
	s_nop 0
	v_addc_co_u32_e32 v11, vcc, 0, v11, vcc
	v_lshl_add_u64 v[8:9], v[8:9], 0, v[10:11]
	v_mul_lo_u32 v1, s29, v8
	v_mul_lo_u32 v5, s28, v9
	v_mad_u64_u32 v[10:11], s[2:3], s28, v8, 0
	v_add3_u32 v1, v11, v5, v1
	v_sub_u32_e32 v5, v7, v1
	v_mov_b32_e32 v11, s29
	v_sub_co_u32_e32 v14, vcc, v6, v10
	v_lshl_add_u64 v[12:13], v[8:9], 0, 1
	s_nop 0
	v_subb_co_u32_e64 v5, s[2:3], v5, v11, vcc
	v_subrev_co_u32_e64 v10, s[2:3], s28, v14
	v_subb_co_u32_e32 v1, vcc, v7, v1, vcc
	s_nop 0
	v_subbrev_co_u32_e64 v5, s[2:3], 0, v5, s[2:3]
	v_cmp_le_u32_e64 s[2:3], s29, v5
	v_cmp_le_u32_e32 vcc, s29, v1
	s_nop 0
	v_cndmask_b32_e64 v11, 0, -1, s[2:3]
	v_cmp_le_u32_e64 s[2:3], s28, v10
	s_nop 1
	v_cndmask_b32_e64 v10, 0, -1, s[2:3]
	v_cmp_eq_u32_e64 s[2:3], s29, v5
	s_nop 1
	v_cndmask_b32_e64 v5, v11, v10, s[2:3]
	v_lshl_add_u64 v[10:11], v[8:9], 0, 2
	v_cmp_ne_u32_e64 s[2:3], 0, v5
	s_nop 1
	v_cndmask_b32_e64 v5, v13, v11, s[2:3]
	v_cndmask_b32_e64 v11, 0, -1, vcc
	v_cmp_le_u32_e32 vcc, s28, v14
	s_nop 1
	v_cndmask_b32_e64 v13, 0, -1, vcc
	v_cmp_eq_u32_e32 vcc, s29, v1
	s_nop 1
	v_cndmask_b32_e32 v1, v11, v13, vcc
	v_cmp_ne_u32_e32 vcc, 0, v1
	v_cndmask_b32_e64 v1, v12, v10, s[2:3]
	s_nop 0
	v_cndmask_b32_e32 v31, v9, v5, vcc
	v_cndmask_b32_e32 v30, v8, v1, vcc
.LBB0_4:                                ;   in Loop: Header=BB0_2 Depth=1
	s_andn2_saveexec_b64 s[2:3], s[30:31]
	s_cbranch_execz .LBB0_6
; %bb.5:                                ;   in Loop: Header=BB0_2 Depth=1
	v_cvt_f32_u32_e32 v1, s28
	s_sub_i32 s30, 0, s28
	v_mov_b32_e32 v31, v4
	v_rcp_iflag_f32_e32 v1, v1
	s_nop 0
	v_mul_f32_e32 v1, 0x4f7ffffe, v1
	v_cvt_u32_f32_e32 v1, v1
	v_mul_lo_u32 v5, s30, v1
	v_mul_hi_u32 v5, v1, v5
	v_add_u32_e32 v1, v1, v5
	v_mul_hi_u32 v1, v6, v1
	v_mul_lo_u32 v5, v1, s28
	v_sub_u32_e32 v5, v6, v5
	v_add_u32_e32 v8, 1, v1
	v_subrev_u32_e32 v9, s28, v5
	v_cmp_le_u32_e32 vcc, s28, v5
	s_nop 1
	v_cndmask_b32_e32 v5, v5, v9, vcc
	v_cndmask_b32_e32 v1, v1, v8, vcc
	v_add_u32_e32 v8, 1, v1
	v_cmp_le_u32_e32 vcc, s28, v5
	s_nop 1
	v_cndmask_b32_e32 v30, v1, v8, vcc
.LBB0_6:                                ;   in Loop: Header=BB0_2 Depth=1
	s_or_b64 exec, exec, s[2:3]
	v_mad_u64_u32 v[8:9], s[2:3], v30, s28, 0
	s_load_dwordx2 s[2:3], s[22:23], 0x0
	v_mul_lo_u32 v1, v31, s28
	v_mul_lo_u32 v5, v30, s29
	s_load_dwordx2 s[28:29], s[20:21], 0x0
	s_add_u32 s26, s26, 1
	v_add3_u32 v1, v9, v5, v1
	v_sub_co_u32_e32 v5, vcc, v6, v8
	s_addc_u32 s27, s27, 0
	s_nop 0
	v_subb_co_u32_e32 v1, vcc, v7, v1, vcc
	s_add_u32 s20, s20, 8
	s_waitcnt lgkmcnt(0)
	v_mul_lo_u32 v6, s2, v1
	v_mul_lo_u32 v7, s3, v5
	v_mad_u64_u32 v[2:3], s[2:3], s2, v5, v[2:3]
	s_addc_u32 s21, s21, 0
	v_add3_u32 v3, v7, v3, v6
	v_mul_lo_u32 v1, s28, v1
	v_mul_lo_u32 v6, s29, v5
	v_mad_u64_u32 v[28:29], s[2:3], s28, v5, v[28:29]
	s_add_u32 s22, s22, 8
	v_add3_u32 v29, v6, v29, v1
	s_addc_u32 s23, s23, 0
	v_mov_b64_e32 v[6:7], s[10:11]
	s_add_u32 s24, s24, 8
	v_cmp_ge_u64_e32 vcc, s[26:27], v[6:7]
	s_addc_u32 s25, s25, 0
	s_cbranch_vccnz .LBB0_9
; %bb.7:                                ;   in Loop: Header=BB0_2 Depth=1
	v_mov_b64_e32 v[6:7], v[30:31]
	s_branch .LBB0_2
.LBB0_8:
	v_mov_b64_e32 v[28:29], v[2:3]
	v_mov_b64_e32 v[30:31], v[6:7]
.LBB0_9:
	s_load_dwordx2 s[0:1], s[0:1], 0x28
	s_lshl_b64 s[10:11], s[10:11], 3
	s_add_u32 s2, s14, s10
	s_addc_u32 s3, s15, s11
                                        ; implicit-def: $vgpr58
	s_waitcnt lgkmcnt(0)
	v_cmp_gt_u64_e32 vcc, s[0:1], v[30:31]
	v_cmp_le_u64_e64 s[0:1], s[0:1], v[30:31]
	s_and_saveexec_b64 s[14:15], s[0:1]
	s_xor_b64 s[0:1], exec, s[14:15]
; %bb.10:
	s_mov_b32 s14, 0x28f5c29
	v_mul_hi_u32 v1, v0, s14
	v_mul_u32_u24_e32 v1, 0x64, v1
	v_sub_u32_e32 v58, v0, v1
                                        ; implicit-def: $vgpr0
                                        ; implicit-def: $vgpr2_vgpr3
; %bb.11:
	s_andn2_saveexec_b64 s[0:1], s[0:1]
	s_cbranch_execz .LBB0_13
; %bb.12:
	s_add_u32 s10, s12, s10
	s_addc_u32 s11, s13, s11
	s_load_dwordx2 s[10:11], s[10:11], 0x0
	s_mov_b32 s12, 0x28f5c29
	s_waitcnt lgkmcnt(0)
	v_mul_lo_u32 v1, s11, v30
	v_mul_lo_u32 v6, s10, v31
	v_mad_u64_u32 v[4:5], s[10:11], s10, v30, 0
	v_add3_u32 v5, v5, v6, v1
	v_mul_hi_u32 v1, v0, s12
	v_mul_u32_u24_e32 v1, 0x64, v1
	v_sub_u32_e32 v58, v0, v1
	v_mad_u64_u32 v[0:1], s[10:11], s18, v58, 0
	v_mov_b32_e32 v6, v1
	v_mad_u64_u32 v[6:7], s[10:11], s19, v58, v[6:7]
	v_lshl_add_u64 v[4:5], v[4:5], 3, s[4:5]
	v_add_u32_e32 v7, 0x64, v58
	v_lshl_add_u64 v[2:3], v[2:3], 3, v[4:5]
	v_mad_u64_u32 v[4:5], s[4:5], s18, v7, 0
	v_mov_b32_e32 v1, v6
	v_mov_b32_e32 v6, v5
	v_mad_u64_u32 v[6:7], s[4:5], s19, v7, v[6:7]
	v_add_u32_e32 v9, 0xc8, v58
	v_mov_b32_e32 v5, v6
	v_mad_u64_u32 v[6:7], s[4:5], s18, v9, 0
	v_mov_b32_e32 v8, v7
	v_mad_u64_u32 v[8:9], s[4:5], s19, v9, v[8:9]
	v_add_u32_e32 v11, 0x12c, v58
	v_mov_b32_e32 v7, v8
	v_mad_u64_u32 v[8:9], s[4:5], s18, v11, 0
	v_mov_b32_e32 v10, v9
	v_mad_u64_u32 v[10:11], s[4:5], s19, v11, v[10:11]
	v_lshl_add_u64 v[0:1], v[0:1], 3, v[2:3]
	v_lshl_add_u64 v[4:5], v[4:5], 3, v[2:3]
	v_mov_b32_e32 v9, v10
	v_lshl_add_u64 v[6:7], v[6:7], 3, v[2:3]
	v_lshl_add_u64 v[8:9], v[8:9], 3, v[2:3]
	global_load_dwordx2 v[10:11], v[0:1], off
	global_load_dwordx2 v[12:13], v[4:5], off
	;; [unrolled: 1-line block ×4, first 2 shown]
	v_add_u32_e32 v5, 0x190, v58
	v_mad_u64_u32 v[0:1], s[4:5], s18, v5, 0
	v_mov_b32_e32 v4, v1
	v_mad_u64_u32 v[4:5], s[4:5], s19, v5, v[4:5]
	v_add_u32_e32 v7, 0x1f4, v58
	v_mov_b32_e32 v1, v4
	v_mad_u64_u32 v[4:5], s[4:5], s18, v7, 0
	v_mov_b32_e32 v6, v5
	v_mad_u64_u32 v[6:7], s[4:5], s19, v7, v[6:7]
	v_add_u32_e32 v9, 0x258, v58
	v_mov_b32_e32 v5, v6
	v_mad_u64_u32 v[6:7], s[4:5], s18, v9, 0
	v_mov_b32_e32 v8, v7
	v_mad_u64_u32 v[8:9], s[4:5], s19, v9, v[8:9]
	v_lshl_add_u64 v[0:1], v[0:1], 3, v[2:3]
	v_mov_b32_e32 v7, v8
	v_lshl_add_u64 v[4:5], v[4:5], 3, v[2:3]
	v_lshl_add_u64 v[2:3], v[6:7], 3, v[2:3]
	global_load_dwordx2 v[6:7], v[0:1], off
	global_load_dwordx2 v[8:9], v[4:5], off
	;; [unrolled: 1-line block ×3, first 2 shown]
	v_lshl_add_u32 v0, v58, 3, 0
	v_add_u32_e32 v1, 0x400, v0
	v_add_u32_e32 v2, 0x800, v0
	s_waitcnt vmcnt(5)
	ds_write2_b64 v0, v[10:11], v[12:13] offset1:100
	s_waitcnt vmcnt(3)
	ds_write2_b64 v1, v[14:15], v[16:17] offset0:72 offset1:172
	s_waitcnt vmcnt(1)
	ds_write2_b64 v2, v[6:7], v[8:9] offset0:144 offset1:244
	s_waitcnt vmcnt(0)
	ds_write_b64 v0, v[18:19] offset:4800
.LBB0_13:
	s_or_b64 exec, exec, s[0:1]
	v_lshl_add_u32 v59, v58, 3, 0
	v_add_u32_e32 v0, 0x1000, v59
	v_add_u32_e32 v60, 0x800, v59
	s_waitcnt lgkmcnt(0)
	s_barrier
	ds_read2_b64 v[8:11], v59 offset1:70
	ds_read2_b64 v[12:15], v59 offset0:140 offset1:210
	ds_read2_b64 v[16:19], v0 offset0:48 offset1:118
	;; [unrolled: 1-line block ×4, first 2 shown]
	s_mov_b32 s0, 0x3f737871
	s_mov_b32 s4, 0x3f167918
	s_waitcnt lgkmcnt(3)
	v_mov_b32_e32 v4, v14
	s_waitcnt lgkmcnt(1)
	v_mov_b32_e32 v0, v22
	;; [unrolled: 2-line block ×3, first 2 shown]
	v_mov_b32_e32 v5, v18
	v_pk_add_f32 v[2:3], v[14:15], v[18:19]
	v_pk_add_f32 v[0:1], v[0:1], v[4:5] neg_lo:[0,1] neg_hi:[0,1]
	v_fma_f32 v48, -0.5, v2, v10
	v_mov_b32_e32 v2, v1
	v_pk_add_f32 v[4:5], v[0:1], v[2:3]
	v_pk_add_f32 v[0:1], v[22:23], v[26:27]
	v_pk_add_f32 v[36:37], v[14:15], v[18:19] neg_lo:[0,1] neg_hi:[0,1]
	v_pk_fma_f32 v[6:7], v[0:1], 0.5, v[10:11] op_sel_hi:[1,0,1] neg_lo:[1,0,0] neg_hi:[1,0,0]
	v_pk_mul_f32 v[32:33], v[36:37], s[0:1] op_sel_hi:[1,0]
	v_pk_add_f32 v[34:35], v[14:15], v[22:23] neg_lo:[0,1] neg_hi:[0,1]
	v_pk_add_f32 v[38:39], v[18:19], v[26:27] neg_lo:[0,1] neg_hi:[0,1]
	v_pk_add_f32 v[0:1], v[6:7], v[32:33] op_sel:[0,1] op_sel_hi:[1,0]
	v_pk_add_f32 v[34:35], v[34:35], v[38:39]
	v_pk_add_f32 v[32:33], v[6:7], v[32:33] op_sel:[0,1] op_sel_hi:[1,0] neg_lo:[0,1] neg_hi:[0,1]
	v_mov_b32_e32 v6, v23
	v_mov_b32_e32 v7, v27
	;; [unrolled: 1-line block ×4, first 2 shown]
	v_pk_add_f32 v[6:7], v[6:7], v[38:39] neg_lo:[0,1] neg_hi:[0,1]
	v_mov_b32_e32 v5, v37
	v_mov_b32_e32 v2, v7
	v_pk_add_f32 v[6:7], v[6:7], v[2:3]
	v_pk_add_f32 v[54:55], v[12:13], v[16:17] neg_lo:[0,1] neg_hi:[0,1]
	v_mov_b32_e32 v7, v36
	v_pk_add_f32 v[36:37], v[20:21], v[24:25]
	v_pk_add_f32 v[52:53], v[20:21], v[24:25] neg_lo:[0,1] neg_hi:[0,1]
	v_pk_fma_f32 v[38:39], v[36:37], 0.5, v[8:9] op_sel_hi:[1,0,1] neg_lo:[1,0,0] neg_hi:[1,0,0]
	v_pk_mul_f32 v[40:41], v[54:55], s[0:1] op_sel_hi:[1,0]
	v_pk_add_f32 v[36:37], v[12:13], v[20:21] neg_lo:[0,1] neg_hi:[0,1]
	v_pk_add_f32 v[42:43], v[16:17], v[24:25] neg_lo:[0,1] neg_hi:[0,1]
	v_pk_mul_f32 v[44:45], v[52:53], s[4:5] op_sel_hi:[1,0]
	v_pk_add_f32 v[46:47], v[36:37], v[42:43]
	v_pk_add_f32 v[36:37], v[38:39], v[40:41] op_sel:[0,1] op_sel_hi:[1,0] neg_lo:[0,1] neg_hi:[0,1]
	v_pk_add_f32 v[38:39], v[38:39], v[40:41] op_sel:[0,1] op_sel_hi:[1,0]
	v_pk_add_f32 v[40:41], v[36:37], v[44:45] op_sel:[0,1] op_sel_hi:[1,0] neg_lo:[0,1] neg_hi:[0,1]
	v_pk_add_f32 v[42:43], v[38:39], v[44:45] op_sel:[0,1] op_sel_hi:[1,0]
	v_fma_f32 v49, -0.5, v3, v11
	v_mov_b32_e32 v43, v41
	v_pk_add_f32 v[40:41], v[22:23], v[26:27] neg_lo:[0,1] neg_hi:[0,1]
	s_mov_b32 s12, 0x3e9e377a
	v_pk_mul_f32 v[50:51], v[40:41], s[4:5] op_sel_hi:[1,0]
	v_fmamk_f32 v64, v40, 0xbf737871, v49
	v_pk_add_f32 v[2:3], v[50:51], v[0:1] op_sel:[1,0] op_sel_hi:[0,1]
	v_pk_fma_f32 v[2:3], v[34:35], s[12:13], v[2:3] op_sel_hi:[1,0,1]
	s_mov_b32 s13, s4
	v_fmac_f32_e32 v49, 0x3f737871, v40
	v_pk_mul_f32 v[6:7], v[6:7], s[12:13]
	v_fmamk_f32 v61, v41, 0x3f737871, v48
	v_fmac_f32_e32 v48, 0xbf737871, v41
	v_pk_mul_f32 v[4:5], v[4:5], s[12:13]
	v_sub_f32_e32 v40, v49, v7
	v_add_f32_e32 v48, v5, v48
	s_mov_b32 s1, s12
	v_add_f32_e32 v40, v6, v40
	s_mov_b32 s10, 0xbe9e377a
	s_mov_b32 s11, s0
	v_pk_mul_f32 v[40:41], v[40:41], s[0:1] op_sel_hi:[0,1]
	v_add_f32_e32 v48, v4, v48
	v_sub_f32_e32 v5, v61, v5
	v_pk_fma_f32 v[40:41], v[48:49], s[10:11], v[40:41] op_sel_hi:[0,1,1] neg_lo:[0,0,1] neg_hi:[0,0,1]
	v_pk_add_f32 v[48:49], v[20:21], v[12:13] neg_lo:[0,1] neg_hi:[0,1]
	v_pk_add_f32 v[56:57], v[24:25], v[16:17] neg_lo:[0,1] neg_hi:[0,1]
	v_add_f32_e32 v4, v4, v5
	v_add_f32_e32 v5, v7, v64
	v_pk_add_f32 v[62:63], v[48:49], v[56:57]
	v_add_f32_e32 v6, v6, v5
	v_pk_add_f32 v[48:49], v[32:33], v[50:51] op_sel:[0,1] op_sel_hi:[1,0] neg_lo:[0,1] neg_hi:[0,1]
	v_pk_fma_f32 v[42:43], v[46:47], s[12:13], v[42:43] op_sel_hi:[1,0,1]
	v_pk_fma_f32 v[64:65], v[34:35], s[12:13], v[48:49] op_sel_hi:[1,0,1]
	s_mov_b32 s13, s0
	v_pk_mul_f32 v[6:7], v[6:7], s[0:1] op_sel_hi:[0,1]
	v_pk_fma_f32 v[48:49], v[4:5], s[12:13], v[6:7] neg_lo:[0,0,1] neg_hi:[0,0,1]
	v_pk_fma_f32 v[4:5], v[4:5], s[12:13], v[6:7] op_sel_hi:[0,1,1]
	v_mov_b32_e32 v49, v5
	v_pk_add_f32 v[4:5], v[12:13], v[16:17]
	v_pk_mul_f32 v[6:7], v[52:53], s[0:1] op_sel_hi:[1,0]
	v_pk_fma_f32 v[4:5], v[4:5], 0.5, v[8:9] op_sel_hi:[1,0,1] neg_lo:[1,0,0] neg_hi:[1,0,0]
	s_mov_b32 s0, 0xbf4f1bbd
	v_pk_add_f32 v[52:53], v[4:5], v[6:7] op_sel:[0,1] op_sel_hi:[1,0]
	v_pk_add_f32 v[4:5], v[4:5], v[6:7] op_sel:[0,1] op_sel_hi:[1,0] neg_lo:[0,1] neg_hi:[0,1]
	v_pk_mul_f32 v[6:7], v[54:55], s[4:5] op_sel_hi:[1,0]
	s_mov_b32 s10, 0xbf167918
	v_pk_add_f32 v[4:5], v[4:5], v[6:7] op_sel:[0,1] op_sel_hi:[1,0]
	v_pk_add_f32 v[6:7], v[52:53], v[6:7] op_sel:[0,1] op_sel_hi:[1,0] neg_lo:[0,1] neg_hi:[0,1]
	v_mov_b32_e32 v53, v5
	v_mov_b32_e32 v52, v6
	;; [unrolled: 1-line block ×3, first 2 shown]
	s_mov_b32 s11, s0
	v_pk_fma_f32 v[56:57], v[62:63], s[12:13], v[52:53] op_sel_hi:[1,0,1]
	v_pk_fma_f32 v[52:53], v[62:63], s[12:13], v[4:5] op_sel_hi:[1,0,1]
	s_mov_b32 s1, s4
	v_pk_mul_f32 v[4:5], v[64:65], s[10:11] op_sel:[1,0]
	s_nop 0
	v_pk_fma_f32 v[54:55], v[2:3], s[0:1], v[4:5] op_sel_hi:[0,1,1]
	s_movk_i32 s0, 0x46
	v_pk_add_f32 v[4:5], v[52:53], v[40:41] neg_lo:[0,1] neg_hi:[0,1]
	v_pk_add_f32 v[6:7], v[42:43], v[54:55] neg_lo:[0,1] neg_hi:[0,1]
	v_cmp_gt_u32_e64 s[0:1], s0, v58
	v_pk_add_f32 v[2:3], v[56:57], v[48:49] neg_lo:[0,1] neg_hi:[0,1]
	s_barrier
	s_and_saveexec_b64 s[10:11], s[0:1]
	s_cbranch_execz .LBB0_15
; %bb.14:
	v_mov_b32_e32 v62, v51
	v_mov_b32_e32 v63, v50
	v_pk_add_f32 v[8:9], v[8:9], v[12:13]
	v_pk_add_f32 v[10:11], v[10:11], v[14:15]
	;; [unrolled: 1-line block ×3, first 2 shown]
	v_pk_add_f32 v[14:15], v[32:33], v[62:63] neg_lo:[0,1] neg_hi:[0,1]
	v_pk_add_f32 v[0:1], v[0:1], v[62:63]
	v_pk_mul_f32 v[34:35], v[34:35], s[12:13] op_sel_hi:[1,0]
	v_mov_b32_e32 v50, v45
	v_mov_b32_e32 v51, v44
	v_pk_add_f32 v[8:9], v[8:9], v[24:25]
	v_mov_b32_e32 v15, v1
	s_movk_i32 s5, 0x48
	v_pk_add_f32 v[8:9], v[8:9], v[16:17]
	v_pk_add_f32 v[10:11], v[10:11], v[22:23]
	;; [unrolled: 1-line block ×3, first 2 shown]
	v_pk_add_f32 v[14:15], v[36:37], v[50:51] neg_lo:[0,1] neg_hi:[0,1]
	v_pk_add_f32 v[16:17], v[38:39], v[50:51]
	v_pk_mul_f32 v[44:45], v[46:47], s[12:13] op_sel_hi:[1,0]
	v_pk_add_f32 v[10:11], v[10:11], v[26:27]
	v_mov_b32_e32 v15, v17
	s_mov_b32 s12, 0x3f4f1bbd
	v_pk_mul_f32 v[16:17], v[0:1], s[4:5] op_sel_hi:[1,0]
	v_pk_add_f32 v[10:11], v[10:11], v[18:19]
	v_pk_fma_f32 v[18:19], v[0:1], s[12:13], v[16:17] op_sel:[0,0,1] op_sel_hi:[1,0,0] neg_lo:[0,0,1] neg_hi:[0,0,1]
	v_pk_fma_f32 v[0:1], v[0:1], s[12:13], v[16:17] op_sel:[0,0,1] op_sel_hi:[1,0,0]
	v_pk_add_f32 v[14:15], v[44:45], v[14:15]
	v_mov_b32_e32 v19, v1
	v_mad_u32_u24 v46, v58, s5, v59
	v_pk_add_f32 v[12:13], v[8:9], v[10:11]
	v_pk_add_f32 v[0:1], v[14:15], v[18:19]
	ds_write2_b64 v46, v[12:13], v[0:1] offset1:1
	v_pk_add_f32 v[0:1], v[56:57], v[48:49]
	v_pk_add_f32 v[12:13], v[52:53], v[40:41]
	ds_write2_b64 v46, v[0:1], v[12:13] offset0:2 offset1:3
	v_pk_add_f32 v[0:1], v[42:43], v[54:55]
	v_pk_add_f32 v[8:9], v[8:9], v[10:11] neg_lo:[0,1] neg_hi:[0,1]
	ds_write2_b64 v46, v[0:1], v[8:9] offset0:4 offset1:5
	v_pk_add_f32 v[0:1], v[14:15], v[18:19] neg_lo:[0,1] neg_hi:[0,1]
	ds_write2_b64 v46, v[0:1], v[2:3] offset0:6 offset1:7
	ds_write2_b64 v46, v[4:5], v[6:7] offset0:8 offset1:9
.LBB0_15:
	s_or_b64 exec, exec, s[10:11]
	s_movk_i32 s4, 0xcd
	v_mul_lo_u16_sdwa v0, v58, s4 dst_sel:DWORD dst_unused:UNUSED_PAD src0_sel:BYTE_0 src1_sel:DWORD
	v_lshrrev_b16_e32 v42, 11, v0
	v_mul_lo_u16_e32 v0, 10, v42
	v_sub_u16_e32 v43, v58, v0
	v_mov_b32_e32 v0, 6
	v_mul_u32_u24_sdwa v0, v43, v0 dst_sel:DWORD dst_unused:UNUSED_PAD src0_sel:BYTE_0 src1_sel:DWORD
	v_lshlrev_b32_e32 v0, 3, v0
	s_load_dwordx2 s[2:3], s[2:3], 0x0
	s_waitcnt lgkmcnt(0)
	s_barrier
	global_load_dwordx4 v[8:11], v0, s[8:9]
	global_load_dwordx4 v[12:15], v0, s[8:9] offset:16
	global_load_dwordx4 v[16:19], v0, s[8:9] offset:32
	v_add_u32_e32 v32, 0x400, v59
	ds_read2_b64 v[20:23], v59 offset1:100
	ds_read2_b64 v[24:27], v60 offset0:144 offset1:244
	ds_read_b64 v[0:1], v59 offset:4800
	ds_read2_b64 v[32:35], v32 offset0:72 offset1:172
	s_mov_b32 s14, 0xbf5ff5aa
	s_mov_b32 s12, 0x3f3bfb3b
	;; [unrolled: 1-line block ×9, first 2 shown]
	s_waitcnt lgkmcnt(0)
	s_barrier
	s_waitcnt vmcnt(2)
	v_mul_f32_e32 v44, v9, v23
	v_mul_f32_e32 v37, v9, v22
	;; [unrolled: 1-line block ×4, first 2 shown]
	s_waitcnt vmcnt(1)
	v_mul_f32_e32 v36, v12, v34
	v_mul_f32_e32 v38, v13, v35
	;; [unrolled: 1-line block ×6, first 2 shown]
	s_waitcnt vmcnt(0)
	v_mul_f32_e32 v11, v17, v27
	v_mul_f32_e32 v17, v17, v26
	;; [unrolled: 1-line block ×4, first 2 shown]
	v_fmac_f32_e32 v44, v8, v22
	v_fma_f32 v41, v8, v23, -v37
	v_fmac_f32_e32 v9, v10, v32
	v_fma_f32 v37, v10, v33, -v39
	v_fma_f32 v13, v12, v35, -v13
	;; [unrolled: 1-line block ×3, first 2 shown]
	v_fmac_f32_e32 v11, v16, v26
	v_fma_f32 v39, v16, v27, -v17
	v_fmac_f32_e32 v24, v18, v0
	v_fma_f32 v35, v18, v1, -v19
	v_add_f32_e32 v14, v44, v24
	v_add_f32_e32 v12, v9, v11
	v_sub_f32_e32 v8, v37, v39
	v_sub_f32_e32 v10, v15, v13
	v_pk_add_f32 v[16:17], v[40:41], v[34:35]
	v_pk_add_f32 v[18:19], v[36:37], v[38:39]
	v_sub_f32_e32 v1, v44, v24
	v_sub_f32_e32 v0, v41, v35
	v_add_f32_e32 v33, v10, v8
	v_pk_add_f32 v[22:23], v[12:13], v[14:15]
	v_pk_add_f32 v[24:25], v[18:19], v[16:17]
	v_sub_f32_e32 v32, v12, v14
	v_sub_f32_e32 v34, v10, v8
	;; [unrolled: 1-line block ×4, first 2 shown]
	v_mov_b32_e32 v8, v16
	v_mov_b32_e32 v10, v18
	v_add_f32_e32 v33, v33, v0
	v_sub_f32_e32 v0, v14, v24
	v_sub_f32_e32 v14, v24, v12
	v_pk_add_f32 v[12:13], v[22:23], v[24:25]
	v_pk_add_f32 v[10:11], v[8:9], v[10:11] neg_lo:[0,1] neg_hi:[0,1]
	v_mul_f32_e32 v24, 0x3f08b237, v34
	v_mul_f32_e32 v15, 0x3f5ff5aa, v36
	v_pk_add_f32 v[8:9], v[12:13], v[20:21]
	v_mul_f32_e32 v0, 0x3f4a47b2, v0
	v_mul_f32_e32 v20, 0x3d64c772, v14
	v_pk_add_f32 v[26:27], v[18:19], v[16:17] neg_lo:[0,1] neg_hi:[0,1]
	v_fma_f32 v16, v36, s14, -v24
	v_fmac_f32_e32 v24, 0xbeae86e6, v35
	v_fmamk_f32 v22, v35, 0x3eae86e6, v15
	v_fmamk_f32 v34, v12, 0xbf955555, v8
	v_fma_f32 v35, v32, s12, -v20
	v_fma_f32 v36, v32, s18, -v0
	v_fmac_f32_e32 v0, 0x3d64c772, v14
	v_sub_f32_e32 v25, v11, v1
	v_add_f32_e32 v18, v10, v11
	v_mov_b32_e32 v12, v27
	v_add_f32_e32 v26, v0, v34
	v_add_f32_e32 v32, v35, v34
	v_add_f32_e32 v34, v36, v34
	v_mov_b32_e32 v36, v23
	v_mov_b32_e32 v37, v10
	;; [unrolled: 1-line block ×3, first 2 shown]
	v_add_f32_e32 v15, v18, v1
	v_mul_f32_e32 v18, 0xbf5ff5aa, v25
	v_pk_mul_f32 v[20:21], v[12:13], s[12:13]
	v_mov_b32_e32 v10, v19
	v_pk_add_f32 v[0:1], v[0:1], v[36:37] neg_lo:[0,1] neg_hi:[0,1]
	v_pk_add_f32 v[10:11], v[36:37], v[10:11] neg_lo:[0,1] neg_hi:[0,1]
	v_mov_b32_e32 v21, v18
	v_pk_mul_f32 v[0:1], v[0:1], s[10:11]
	v_pk_fma_f32 v[18:19], v[10:11], s[4:5], v[20:21] neg_lo:[1,0,0] neg_hi:[1,0,0]
	v_xor_b32_e32 v20, 0x80000000, v0
	v_mov_b32_e32 v21, v9
	v_pk_fma_f32 v[12:13], v[12:13], s[12:13], v[20:21] neg_lo:[1,0,0] neg_hi:[1,0,0]
	v_mul_f32_e32 v15, 0xbee1c552, v15
	v_fma_f32 v17, v25, s15, -v1
	v_pk_fma_f32 v[0:1], v[10:11], s[4:5], v[0:1]
	v_mov_b32_e32 v14, v13
	v_pk_add_f32 v[0:1], v[0:1], v[14:15]
	v_pk_add_f32 v[20:21], v[18:19], v[14:15]
	v_mov_b32_e32 v13, v15
	v_mov_b32_e32 v15, v17
	v_pk_add_f32 v[12:13], v[12:13], v[14:15]
	v_mov_b32_e32 v11, 3
	v_fmac_f32_e32 v24, 0xbee1c552, v33
	v_fmac_f32_e32 v16, 0xbee1c552, v33
	;; [unrolled: 1-line block ×3, first 2 shown]
	v_mul_u32_u24_e32 v10, 0x230, v42
	v_lshlrev_b32_sdwa v11, v11, v43 dst_sel:DWORD dst_unused:UNUSED_PAD src0_sel:DWORD src1_sel:BYTE_0
	v_mov_b32_e32 v25, v0
	v_mov_b32_e32 v27, v1
	;; [unrolled: 1-line block ×6, first 2 shown]
	v_add3_u32 v36, 0, v10, v11
	v_pk_add_f32 v[0:1], v[24:25], v[26:27]
	v_pk_add_f32 v[10:11], v[24:25], v[26:27] neg_lo:[0,1] neg_hi:[0,1]
	v_pk_add_f32 v[18:19], v[22:23], v[34:35]
	v_pk_add_f32 v[12:13], v[22:23], v[34:35] neg_lo:[0,1] neg_hi:[0,1]
	v_pk_add_f32 v[14:15], v[32:33], v[16:17] neg_lo:[0,1] neg_hi:[0,1]
	v_pk_add_f32 v[20:21], v[32:33], v[16:17]
	v_pk_add_f32 v[16:17], v[16:17], v[32:33] neg_lo:[0,1] neg_hi:[0,1]
	v_pk_add_f32 v[22:23], v[34:35], v[22:23] neg_lo:[0,1] neg_hi:[0,1]
	;; [unrolled: 1-line block ×3, first 2 shown]
	v_mov_b32_e32 v10, v0
	v_mov_b32_e32 v12, v18
	;; [unrolled: 1-line block ×6, first 2 shown]
	ds_write2_b64 v36, v[8:9], v[10:11] offset1:10
	ds_write2_b64 v36, v[12:13], v[14:15] offset0:20 offset1:30
	ds_write2_b64 v36, v[16:17], v[22:23] offset0:40 offset1:50
	ds_write_b64 v36, v[24:25] offset:480
	s_waitcnt lgkmcnt(0)
	s_barrier
	s_and_saveexec_b64 s[4:5], s[0:1]
	s_cbranch_execz .LBB0_17
; %bb.16:
	v_add_u32_e32 v4, 0x800, v59
	ds_read2_b64 v[8:11], v59 offset1:70
	ds_read2_b64 v[0:3], v4 offset0:164 offset1:234
	ds_read2_b64 v[16:19], v4 offset0:24 offset1:94
	ds_read2_b64 v[12:15], v59 offset0:140 offset1:210
	v_add_u32_e32 v4, 0x1000, v59
	ds_read2_b64 v[4:7], v4 offset0:48 offset1:118
	s_waitcnt lgkmcnt(3)
	v_mov_b32_e32 v24, v0
	s_waitcnt lgkmcnt(2)
	v_mov_b32_e32 v22, v18
	v_mov_b32_e32 v20, v16
	s_waitcnt lgkmcnt(1)
	v_mov_b32_e32 v21, v15
	v_mov_b32_e32 v18, v12
	;; [unrolled: 1-line block ×3, first 2 shown]
.LBB0_17:
	s_or_b64 exec, exec, s[4:5]
	s_waitcnt lgkmcnt(0)
	s_barrier
	s_and_saveexec_b64 s[4:5], s[0:1]
	s_cbranch_execz .LBB0_19
; %bb.18:
	v_add_u32_e32 v10, 0xffffffba, v58
	v_cndmask_b32_e64 v10, v10, v58, s[0:1]
	v_mul_i32_i24_e32 v26, 9, v10
	v_mov_b32_e32 v27, 0
	v_lshl_add_u64 v[26:27], v[26:27], 3, s[8:9]
	global_load_dwordx4 v[32:35], v[26:27], off offset:480
	global_load_dwordx4 v[36:39], v[26:27], off offset:496
	;; [unrolled: 1-line block ×4, first 2 shown]
	global_load_dwordx2 v[48:49], v[26:27], off offset:544
	v_mov_b32_e32 v10, v13
	v_mov_b32_e32 v12, v17
	;; [unrolled: 1-line block ×7, first 2 shown]
	s_mov_b32 s0, 0x3e9e377a
	s_mov_b32 s1, 0x3f167918
	s_mov_b32 s8, 0x3f737871
	s_mov_b32 s10, s1
	s_mov_b32 s12, 0x3f4f1bbd
	s_mov_b32 s14, s1
	s_mov_b32 s15, s12
	s_mov_b32 s13, s1
	s_waitcnt vmcnt(4)
	v_pk_mul_f32 v[10:11], v[10:11], v[34:35] op_sel_hi:[0,1]
	s_waitcnt vmcnt(3)
	v_pk_mul_f32 v[12:13], v[12:13], v[38:39] op_sel_hi:[0,1]
	s_waitcnt vmcnt(2)
	v_pk_mul_f32 v[56:57], v[4:5], v[42:43] op_sel:[1,0]
	s_waitcnt vmcnt(1)
	v_pk_mul_f32 v[16:17], v[16:17], v[46:47] op_sel_hi:[0,1]
	v_pk_mul_f32 v[26:27], v[26:27], v[36:37] op_sel_hi:[0,1]
	;; [unrolled: 1-line block ×3, first 2 shown]
	s_waitcnt vmcnt(0)
	v_pk_mul_f32 v[60:61], v[6:7], v[48:49] op_sel:[1,0]
	v_pk_mul_f32 v[52:53], v[52:53], v[40:41] op_sel_hi:[0,1]
	v_pk_fma_f32 v[62:63], v[18:19], v[34:35], v[10:11] op_sel:[0,0,1] op_sel_hi:[1,1,0]
	v_pk_fma_f32 v[10:11], v[18:19], v[34:35], v[10:11] op_sel:[0,0,1] op_sel_hi:[0,1,0] neg_lo:[1,0,0] neg_hi:[1,0,0]
	v_pk_fma_f32 v[18:19], v[20:21], v[38:39], v[12:13] op_sel:[0,0,1] op_sel_hi:[1,1,0]
	v_pk_fma_f32 v[12:13], v[20:21], v[38:39], v[12:13] op_sel:[0,0,1] op_sel_hi:[0,1,0] neg_lo:[1,0,0] neg_hi:[1,0,0]
	;; [unrolled: 2-line block ×8, first 2 shown]
	v_pk_mul_f32 v[54:55], v[54:55], v[32:33] op_sel_hi:[0,1]
	v_mov_b32_e32 v63, v11
	v_mov_b32_e32 v21, v5
	;; [unrolled: 1-line block ×10, first 2 shown]
	v_pk_fma_f32 v[40:41], v[0:1], v[32:33], v[54:55] op_sel:[0,0,1] op_sel_hi:[0,1,0]
	v_pk_fma_f32 v[0:1], v[0:1], v[32:33], v[54:55] op_sel:[0,0,1] op_sel_hi:[0,1,0] neg_lo:[1,0,0] neg_hi:[1,0,0]
	v_mov_b32_e32 v19, v13
	v_mov_b32_e32 v25, v15
	;; [unrolled: 1-line block ×3, first 2 shown]
	v_pk_add_f32 v[12:13], v[4:5], v[10:11] neg_lo:[0,1] neg_hi:[0,1]
	v_pk_add_f32 v[14:15], v[26:27], v[38:39]
	v_pk_add_f32 v[32:33], v[6:7], v[2:3] neg_lo:[0,1] neg_hi:[0,1]
	v_pk_add_f32 v[2:3], v[2:3], v[6:7] neg_lo:[0,1] neg_hi:[0,1]
	v_mov_b32_e32 v43, v40
	v_pk_add_f32 v[4:5], v[10:11], v[4:5] neg_lo:[0,1] neg_hi:[0,1]
	v_pk_add_f32 v[10:11], v[24:25], v[36:37]
	v_mov_b32_e32 v0, v13
	v_fma_f32 v44, -0.5, v14, v40
	v_mov_b32_e32 v14, v33
	v_mov_b32_e32 v6, v3
	;; [unrolled: 1-line block ×4, first 2 shown]
	v_pk_add_f32 v[16:17], v[24:25], v[36:37] neg_lo:[0,1] neg_hi:[0,1]
	v_pk_add_f32 v[22:23], v[26:27], v[38:39] neg_lo:[0,1] neg_hi:[0,1]
	v_fma_f32 v45, -0.5, v15, v1
	v_mov_b32_e32 v42, v5
	v_fmac_f32_e32 v43, -0.5, v10
	v_pk_add_f32 v[12:13], v[12:13], v[0:1]
	v_pk_add_f32 v[14:15], v[32:33], v[14:15]
	;; [unrolled: 1-line block ×3, first 2 shown]
	v_fmac_f32_e32 v1, -0.5, v11
	v_pk_add_f32 v[4:5], v[4:5], v[42:43]
	v_fmamk_f32 v32, v23, 0xbf737871, v43
	v_mov_b32_e32 v13, v23
	v_mov_b32_e32 v15, v22
	v_fmamk_f32 v6, v22, 0x3f737871, v1
	v_mov_b32_e32 v3, v16
	v_fmac_f32_e32 v43, 0x3f737871, v23
	v_fmac_f32_e32 v1, 0xbf737871, v22
	v_pk_add_f32 v[22:23], v[40:41], v[24:25]
	v_pk_mul_f32 v[2:3], v[2:3], s[0:1]
	v_pk_add_f32 v[22:23], v[22:23], v[26:27]
	v_fmamk_f32 v0, v17, 0x3f737871, v44
	v_pk_mul_f32 v[12:13], v[12:13], s[0:1]
	v_sub_f32_e32 v6, v6, v3
	v_add_f32_e32 v1, v3, v1
	v_fmac_f32_e32 v44, 0xbf737871, v17
	v_pk_add_f32 v[22:23], v[22:23], v[38:39]
	v_fmamk_f32 v10, v16, 0xbf737871, v45
	v_mov_b32_e32 v5, v17
	v_pk_mul_f32 v[14:15], v[14:15], s[0:1]
	v_add_f32_e32 v0, v13, v0
	v_add_f32_e32 v6, v2, v6
	;; [unrolled: 1-line block ×3, first 2 shown]
	v_sub_f32_e32 v1, v44, v13
	v_fmac_f32_e32 v45, 0x3f737871, v16
	v_pk_add_f32 v[22:23], v[22:23], v[36:37]
	v_pk_add_f32 v[26:27], v[18:19], v[34:35]
	v_pk_add_f32 v[36:37], v[62:63], v[20:21] neg_lo:[0,1] neg_hi:[0,1]
	v_pk_mul_f32 v[4:5], v[4:5], s[0:1]
	v_sub_f32_e32 v10, v10, v15
	v_add_f32_e32 v0, v12, v0
	v_add_f32_e32 v12, v12, v1
	;; [unrolled: 1-line block ×3, first 2 shown]
	v_pk_fma_f32 v[26:27], v[26:27], 0.5, v[8:9] op_sel_hi:[1,0,1] neg_lo:[1,0,0] neg_hi:[1,0,0]
	v_pk_mul_f32 v[38:39], v[36:37], s[8:9] op_sel_hi:[1,0]
	v_pk_add_f32 v[40:41], v[18:19], v[34:35] neg_lo:[0,1] neg_hi:[0,1]
	v_pk_add_f32 v[44:45], v[62:63], v[18:19] neg_lo:[0,1] neg_hi:[0,1]
	;; [unrolled: 1-line block ×3, first 2 shown]
	v_add_f32_e32 v32, v5, v32
	v_add_f32_e32 v10, v14, v10
	v_sub_f32_e32 v5, v43, v5
	v_add_f32_e32 v14, v14, v1
	v_pk_add_f32 v[16:17], v[8:9], v[62:63]
	v_pk_mul_f32 v[42:43], v[40:41], s[10:11] op_sel_hi:[1,0]
	v_pk_add_f32 v[44:45], v[44:45], v[46:47]
	v_pk_add_f32 v[46:47], v[26:27], v[38:39] op_sel:[0,1] op_sel_hi:[1,0] neg_lo:[0,1] neg_hi:[0,1]
	v_pk_add_f32 v[26:27], v[26:27], v[38:39] op_sel:[0,1] op_sel_hi:[1,0]
	v_pk_add_f32 v[16:17], v[16:17], v[18:19]
	v_pk_add_f32 v[26:27], v[26:27], v[42:43] op_sel:[0,1] op_sel_hi:[1,0]
	v_pk_add_f32 v[38:39], v[46:47], v[42:43] op_sel:[0,1] op_sel_hi:[1,0] neg_lo:[0,1] neg_hi:[0,1]
	v_pk_mul_f32 v[14:15], v[14:15], s[14:15] op_sel_hi:[0,1]
	v_pk_add_f32 v[16:17], v[16:17], v[34:35]
	v_mov_b32_e32 v42, v38
	v_mov_b32_e32 v43, v27
	v_pk_fma_f32 v[46:47], v[12:13], s[12:13], v[14:15] neg_lo:[0,0,1] neg_hi:[0,0,1]
	v_pk_fma_f32 v[12:13], v[12:13], s[12:13], v[14:15] op_sel_hi:[0,1,1]
	v_pk_add_f32 v[16:17], v[16:17], v[20:21]
	v_pk_fma_f32 v[42:43], v[44:45], s[0:1], v[42:43] op_sel_hi:[1,0,1]
	v_mov_b32_e32 v47, v13
	v_pk_add_f32 v[24:25], v[16:17], v[22:23]
	v_pk_add_f32 v[12:13], v[42:43], v[46:47]
	ds_write2_b64 v59, v[24:25], v[12:13] offset1:70
	v_pk_add_f32 v[12:13], v[18:19], v[62:63] neg_lo:[0,1] neg_hi:[0,1]
	v_pk_add_f32 v[14:15], v[34:35], v[20:21] neg_lo:[0,1] neg_hi:[0,1]
	s_mov_b32 s9, s0
	v_add_f32_e32 v32, v4, v32
	v_add_f32_e32 v4, v4, v5
	v_pk_add_f32 v[12:13], v[12:13], v[14:15]
	v_pk_add_f32 v[14:15], v[62:63], v[20:21]
	s_mov_b32 s12, s0
	s_mov_b32 s13, s8
	v_pk_mul_f32 v[2:3], v[2:3], s[8:9] op_sel_hi:[0,1]
	v_pk_fma_f32 v[8:9], v[14:15], 0.5, v[8:9] op_sel_hi:[1,0,1] neg_lo:[1,0,0] neg_hi:[1,0,0]
	v_pk_fma_f32 v[14:15], v[4:5], s[12:13], v[2:3] neg_lo:[0,0,1] neg_hi:[0,0,1]
	v_pk_fma_f32 v[2:3], v[4:5], s[12:13], v[2:3] op_sel_hi:[0,1,1]
	v_mov_b32_e32 v15, v3
	v_pk_mul_f32 v[2:3], v[40:41], s[8:9] op_sel_hi:[1,0]
	v_pk_mul_f32 v[4:5], v[36:37], s[10:11] op_sel_hi:[1,0]
	v_pk_add_f32 v[18:19], v[8:9], v[2:3] op_sel:[0,1] op_sel_hi:[1,0]
	v_pk_add_f32 v[2:3], v[8:9], v[2:3] op_sel:[0,1] op_sel_hi:[1,0] neg_lo:[0,1] neg_hi:[0,1]
	s_mov_b32 s10, 0xbe9e377a
	v_pk_add_f32 v[2:3], v[2:3], v[4:5] op_sel:[0,1] op_sel_hi:[1,0]
	v_pk_add_f32 v[4:5], v[18:19], v[4:5] op_sel:[0,1] op_sel_hi:[1,0] neg_lo:[0,1] neg_hi:[0,1]
	v_mov_b32_e32 v9, v3
	v_mov_b32_e32 v8, v4
	s_mov_b32 s11, s8
	v_pk_mul_f32 v[6:7], v[6:7], s[8:9] op_sel_hi:[0,1]
	v_mov_b32_e32 v3, v5
	v_pk_fma_f32 v[8:9], v[12:13], s[0:1], v[8:9] op_sel_hi:[1,0,1]
	v_pk_fma_f32 v[6:7], v[32:33], s[10:11], v[6:7] op_sel_hi:[0,1,1] neg_lo:[0,0,1] neg_hi:[0,0,1]
	v_pk_fma_f32 v[2:3], v[12:13], s[0:1], v[2:3] op_sel_hi:[1,0,1]
	v_pk_add_f32 v[18:19], v[8:9], v[14:15]
	v_pk_add_f32 v[4:5], v[2:3], v[6:7]
	ds_write2_b64 v59, v[18:19], v[4:5] offset0:140 offset1:210
	s_mov_b32 s8, 0xbf4f1bbd
	s_mov_b32 s9, s1
	v_pk_mul_f32 v[4:5], v[10:11], s[14:15] op_sel_hi:[0,1]
	v_mov_b32_e32 v27, v39
	v_pk_fma_f32 v[0:1], v[0:1], s[8:9], v[4:5] op_sel_hi:[0,1,1] neg_lo:[0,0,1] neg_hi:[0,0,1]
	v_pk_fma_f32 v[4:5], v[44:45], s[0:1], v[26:27] op_sel_hi:[1,0,1]
	v_pk_add_f32 v[12:13], v[16:17], v[22:23] neg_lo:[0,1] neg_hi:[0,1]
	v_pk_add_f32 v[10:11], v[4:5], v[0:1]
	v_add_u32_e32 v16, 0x800, v59
	ds_write2_b64 v16, v[10:11], v[12:13] offset0:24 offset1:94
	v_pk_add_f32 v[10:11], v[42:43], v[46:47] neg_lo:[0,1] neg_hi:[0,1]
	v_pk_add_f32 v[8:9], v[8:9], v[14:15] neg_lo:[0,1] neg_hi:[0,1]
	;; [unrolled: 1-line block ×4, first 2 shown]
	v_add_u32_e32 v4, 0x1000, v59
	ds_write2_b64 v16, v[10:11], v[8:9] offset0:164 offset1:234
	ds_write2_b64 v4, v[2:3], v[0:1] offset0:48 offset1:118
.LBB0_19:
	s_or_b64 exec, exec, s[4:5]
	s_waitcnt lgkmcnt(0)
	s_barrier
	s_and_saveexec_b64 s[0:1], vcc
	s_cbranch_execz .LBB0_21
; %bb.20:
	v_mul_lo_u32 v0, s3, v30
	v_mul_lo_u32 v1, s2, v31
	v_mad_u64_u32 v[4:5], s[0:1], s2, v30, 0
	v_mad_u64_u32 v[6:7], s[0:1], s16, v58, 0
	v_add3_u32 v5, v5, v1, v0
	v_mov_b32_e32 v0, v7
	v_lshl_add_u32 v10, v58, 3, 0
	v_mad_u64_u32 v[8:9], s[0:1], s17, v58, v[0:1]
	ds_read2_b64 v[0:3], v10 offset1:100
	v_lshl_add_u64 v[4:5], v[4:5], 3, s[6:7]
	v_mov_b32_e32 v7, v8
	v_lshl_add_u64 v[4:5], v[28:29], 3, v[4:5]
	v_lshl_add_u64 v[6:7], v[6:7], 3, v[4:5]
	s_waitcnt lgkmcnt(0)
	global_store_dwordx2 v[6:7], v[0:1], off
	v_add_u32_e32 v7, 0x64, v58
	v_mad_u64_u32 v[0:1], s[0:1], s16, v7, 0
	v_mov_b32_e32 v6, v1
	v_mad_u64_u32 v[6:7], s[0:1], s17, v7, v[6:7]
	v_mov_b32_e32 v1, v6
	v_lshl_add_u64 v[0:1], v[0:1], 3, v[4:5]
	global_store_dwordx2 v[0:1], v[2:3], off
	v_add_u32_e32 v9, 0xc8, v58
	v_add_u32_e32 v0, 0x400, v10
	v_mad_u64_u32 v[6:7], s[0:1], s16, v9, 0
	ds_read2_b64 v[0:3], v0 offset0:72 offset1:172
	v_mov_b32_e32 v8, v7
	v_mad_u64_u32 v[8:9], s[0:1], s17, v9, v[8:9]
	v_mov_b32_e32 v7, v8
	v_lshl_add_u64 v[6:7], v[6:7], 3, v[4:5]
	s_waitcnt lgkmcnt(0)
	global_store_dwordx2 v[6:7], v[0:1], off
	v_add_u32_e32 v7, 0x12c, v58
	v_mad_u64_u32 v[0:1], s[0:1], s16, v7, 0
	v_mov_b32_e32 v6, v1
	v_mad_u64_u32 v[6:7], s[0:1], s17, v7, v[6:7]
	v_mov_b32_e32 v1, v6
	v_lshl_add_u64 v[0:1], v[0:1], 3, v[4:5]
	global_store_dwordx2 v[0:1], v[2:3], off
	v_add_u32_e32 v9, 0x190, v58
	v_add_u32_e32 v0, 0x800, v10
	v_mad_u64_u32 v[6:7], s[0:1], s16, v9, 0
	ds_read2_b64 v[0:3], v0 offset0:144 offset1:244
	v_mov_b32_e32 v8, v7
	v_mad_u64_u32 v[8:9], s[0:1], s17, v9, v[8:9]
	v_mov_b32_e32 v7, v8
	v_lshl_add_u64 v[6:7], v[6:7], 3, v[4:5]
	s_waitcnt lgkmcnt(0)
	global_store_dwordx2 v[6:7], v[0:1], off
	v_add_u32_e32 v7, 0x1f4, v58
	v_mad_u64_u32 v[0:1], s[0:1], s16, v7, 0
	v_mov_b32_e32 v6, v1
	v_mad_u64_u32 v[6:7], s[0:1], s17, v7, v[6:7]
	v_mov_b32_e32 v1, v6
	v_lshl_add_u64 v[0:1], v[0:1], 3, v[4:5]
	global_store_dwordx2 v[0:1], v[2:3], off
	v_add_u32_e32 v3, 0x258, v58
	v_mad_u64_u32 v[0:1], s[0:1], s16, v3, 0
	ds_read_b64 v[6:7], v10 offset:4800
	v_mov_b32_e32 v2, v1
	v_mad_u64_u32 v[2:3], s[0:1], s17, v3, v[2:3]
	v_mov_b32_e32 v1, v2
	v_lshl_add_u64 v[0:1], v[0:1], 3, v[4:5]
	s_waitcnt lgkmcnt(0)
	global_store_dwordx2 v[0:1], v[6:7], off
.LBB0_21:
	s_endpgm
	.section	.rodata,"a",@progbits
	.p2align	6, 0x0
	.amdhsa_kernel fft_rtc_back_len700_factors_10_7_10_wgs_100_tpt_100_sp_op_CI_CI_sbrr_dirReg
		.amdhsa_group_segment_fixed_size 0
		.amdhsa_private_segment_fixed_size 0
		.amdhsa_kernarg_size 104
		.amdhsa_user_sgpr_count 2
		.amdhsa_user_sgpr_dispatch_ptr 0
		.amdhsa_user_sgpr_queue_ptr 0
		.amdhsa_user_sgpr_kernarg_segment_ptr 1
		.amdhsa_user_sgpr_dispatch_id 0
		.amdhsa_user_sgpr_kernarg_preload_length 0
		.amdhsa_user_sgpr_kernarg_preload_offset 0
		.amdhsa_user_sgpr_private_segment_size 0
		.amdhsa_uses_dynamic_stack 0
		.amdhsa_enable_private_segment 0
		.amdhsa_system_sgpr_workgroup_id_x 1
		.amdhsa_system_sgpr_workgroup_id_y 0
		.amdhsa_system_sgpr_workgroup_id_z 0
		.amdhsa_system_sgpr_workgroup_info 0
		.amdhsa_system_vgpr_workitem_id 0
		.amdhsa_next_free_vgpr 66
		.amdhsa_next_free_sgpr 32
		.amdhsa_accum_offset 68
		.amdhsa_reserve_vcc 1
		.amdhsa_float_round_mode_32 0
		.amdhsa_float_round_mode_16_64 0
		.amdhsa_float_denorm_mode_32 3
		.amdhsa_float_denorm_mode_16_64 3
		.amdhsa_dx10_clamp 1
		.amdhsa_ieee_mode 1
		.amdhsa_fp16_overflow 0
		.amdhsa_tg_split 0
		.amdhsa_exception_fp_ieee_invalid_op 0
		.amdhsa_exception_fp_denorm_src 0
		.amdhsa_exception_fp_ieee_div_zero 0
		.amdhsa_exception_fp_ieee_overflow 0
		.amdhsa_exception_fp_ieee_underflow 0
		.amdhsa_exception_fp_ieee_inexact 0
		.amdhsa_exception_int_div_zero 0
	.end_amdhsa_kernel
	.text
.Lfunc_end0:
	.size	fft_rtc_back_len700_factors_10_7_10_wgs_100_tpt_100_sp_op_CI_CI_sbrr_dirReg, .Lfunc_end0-fft_rtc_back_len700_factors_10_7_10_wgs_100_tpt_100_sp_op_CI_CI_sbrr_dirReg
                                        ; -- End function
	.section	.AMDGPU.csdata,"",@progbits
; Kernel info:
; codeLenInByte = 5712
; NumSgprs: 38
; NumVgprs: 66
; NumAgprs: 0
; TotalNumVgprs: 66
; ScratchSize: 0
; MemoryBound: 0
; FloatMode: 240
; IeeeMode: 1
; LDSByteSize: 0 bytes/workgroup (compile time only)
; SGPRBlocks: 4
; VGPRBlocks: 8
; NumSGPRsForWavesPerEU: 38
; NumVGPRsForWavesPerEU: 66
; AccumOffset: 68
; Occupancy: 7
; WaveLimiterHint : 1
; COMPUTE_PGM_RSRC2:SCRATCH_EN: 0
; COMPUTE_PGM_RSRC2:USER_SGPR: 2
; COMPUTE_PGM_RSRC2:TRAP_HANDLER: 0
; COMPUTE_PGM_RSRC2:TGID_X_EN: 1
; COMPUTE_PGM_RSRC2:TGID_Y_EN: 0
; COMPUTE_PGM_RSRC2:TGID_Z_EN: 0
; COMPUTE_PGM_RSRC2:TIDIG_COMP_CNT: 0
; COMPUTE_PGM_RSRC3_GFX90A:ACCUM_OFFSET: 16
; COMPUTE_PGM_RSRC3_GFX90A:TG_SPLIT: 0
	.text
	.p2alignl 6, 3212836864
	.fill 256, 4, 3212836864
	.type	__hip_cuid_bf04bc0788a3a0cd,@object ; @__hip_cuid_bf04bc0788a3a0cd
	.section	.bss,"aw",@nobits
	.globl	__hip_cuid_bf04bc0788a3a0cd
__hip_cuid_bf04bc0788a3a0cd:
	.byte	0                               ; 0x0
	.size	__hip_cuid_bf04bc0788a3a0cd, 1

	.ident	"AMD clang version 19.0.0git (https://github.com/RadeonOpenCompute/llvm-project roc-6.4.0 25133 c7fe45cf4b819c5991fe208aaa96edf142730f1d)"
	.section	".note.GNU-stack","",@progbits
	.addrsig
	.addrsig_sym __hip_cuid_bf04bc0788a3a0cd
	.amdgpu_metadata
---
amdhsa.kernels:
  - .agpr_count:     0
    .args:
      - .actual_access:  read_only
        .address_space:  global
        .offset:         0
        .size:           8
        .value_kind:     global_buffer
      - .offset:         8
        .size:           8
        .value_kind:     by_value
      - .actual_access:  read_only
        .address_space:  global
        .offset:         16
        .size:           8
        .value_kind:     global_buffer
      - .actual_access:  read_only
        .address_space:  global
        .offset:         24
        .size:           8
        .value_kind:     global_buffer
      - .actual_access:  read_only
        .address_space:  global
        .offset:         32
        .size:           8
        .value_kind:     global_buffer
      - .offset:         40
        .size:           8
        .value_kind:     by_value
      - .actual_access:  read_only
        .address_space:  global
        .offset:         48
        .size:           8
        .value_kind:     global_buffer
      - .actual_access:  read_only
        .address_space:  global
        .offset:         56
        .size:           8
        .value_kind:     global_buffer
      - .offset:         64
        .size:           4
        .value_kind:     by_value
      - .actual_access:  read_only
        .address_space:  global
        .offset:         72
        .size:           8
        .value_kind:     global_buffer
      - .actual_access:  read_only
        .address_space:  global
        .offset:         80
        .size:           8
        .value_kind:     global_buffer
      - .actual_access:  read_only
        .address_space:  global
        .offset:         88
        .size:           8
        .value_kind:     global_buffer
      - .actual_access:  write_only
        .address_space:  global
        .offset:         96
        .size:           8
        .value_kind:     global_buffer
    .group_segment_fixed_size: 0
    .kernarg_segment_align: 8
    .kernarg_segment_size: 104
    .language:       OpenCL C
    .language_version:
      - 2
      - 0
    .max_flat_workgroup_size: 100
    .name:           fft_rtc_back_len700_factors_10_7_10_wgs_100_tpt_100_sp_op_CI_CI_sbrr_dirReg
    .private_segment_fixed_size: 0
    .sgpr_count:     38
    .sgpr_spill_count: 0
    .symbol:         fft_rtc_back_len700_factors_10_7_10_wgs_100_tpt_100_sp_op_CI_CI_sbrr_dirReg.kd
    .uniform_work_group_size: 1
    .uses_dynamic_stack: false
    .vgpr_count:     66
    .vgpr_spill_count: 0
    .wavefront_size: 64
amdhsa.target:   amdgcn-amd-amdhsa--gfx950
amdhsa.version:
  - 1
  - 2
...

	.end_amdgpu_metadata
